;; amdgpu-corpus repo=ROCm/rocFFT kind=compiled arch=gfx1030 opt=O3
	.text
	.amdgcn_target "amdgcn-amd-amdhsa--gfx1030"
	.amdhsa_code_object_version 6
	.protected	fft_rtc_fwd_len850_factors_10_5_17_wgs_85_tpt_85_sp_ip_CI_unitstride_sbrr_R2C_dirReg ; -- Begin function fft_rtc_fwd_len850_factors_10_5_17_wgs_85_tpt_85_sp_ip_CI_unitstride_sbrr_R2C_dirReg
	.globl	fft_rtc_fwd_len850_factors_10_5_17_wgs_85_tpt_85_sp_ip_CI_unitstride_sbrr_R2C_dirReg
	.p2align	8
	.type	fft_rtc_fwd_len850_factors_10_5_17_wgs_85_tpt_85_sp_ip_CI_unitstride_sbrr_R2C_dirReg,@function
fft_rtc_fwd_len850_factors_10_5_17_wgs_85_tpt_85_sp_ip_CI_unitstride_sbrr_R2C_dirReg: ; @fft_rtc_fwd_len850_factors_10_5_17_wgs_85_tpt_85_sp_ip_CI_unitstride_sbrr_R2C_dirReg
; %bb.0:
	s_mov_b64 s[26:27], s[2:3]
	s_mov_b64 s[24:25], s[0:1]
	s_clause 0x2
	s_load_dwordx4 s[8:11], s[4:5], 0x0
	s_load_dwordx2 s[2:3], s[4:5], 0x50
	s_load_dwordx2 s[12:13], s[4:5], 0x18
	v_mul_u32_u24_e32 v1, 0x304, v0
	v_mov_b32_e32 v3, 0
	s_add_u32 s24, s24, s7
	s_addc_u32 s25, s25, 0
	v_add_nc_u32_sdwa v5, s6, v1 dst_sel:DWORD dst_unused:UNUSED_PAD src0_sel:DWORD src1_sel:WORD_1
	v_mov_b32_e32 v1, 0
	v_mov_b32_e32 v6, v3
	;; [unrolled: 1-line block ×3, first 2 shown]
	s_waitcnt lgkmcnt(0)
	v_cmp_lt_u64_e64 s0, s[10:11], 2
	s_and_b32 vcc_lo, exec_lo, s0
	s_cbranch_vccnz .LBB0_8
; %bb.1:
	s_load_dwordx2 s[0:1], s[4:5], 0x10
	v_mov_b32_e32 v1, 0
	s_add_u32 s6, s12, 8
	v_mov_b32_e32 v2, 0
	s_addc_u32 s7, s13, 0
	s_mov_b64 s[16:17], 1
	s_waitcnt lgkmcnt(0)
	s_add_u32 s14, s0, 8
	s_addc_u32 s15, s1, 0
.LBB0_2:                                ; =>This Inner Loop Header: Depth=1
	s_load_dwordx2 s[18:19], s[14:15], 0x0
                                        ; implicit-def: $vgpr7_vgpr8
	s_mov_b32 s0, exec_lo
	s_waitcnt lgkmcnt(0)
	v_or_b32_e32 v4, s19, v6
	v_cmpx_ne_u64_e32 0, v[3:4]
	s_xor_b32 s1, exec_lo, s0
	s_cbranch_execz .LBB0_4
; %bb.3:                                ;   in Loop: Header=BB0_2 Depth=1
	v_cvt_f32_u32_e32 v4, s18
	v_cvt_f32_u32_e32 v7, s19
	s_sub_u32 s0, 0, s18
	s_subb_u32 s20, 0, s19
	v_fmac_f32_e32 v4, 0x4f800000, v7
	v_rcp_f32_e32 v4, v4
	v_mul_f32_e32 v4, 0x5f7ffffc, v4
	v_mul_f32_e32 v7, 0x2f800000, v4
	v_trunc_f32_e32 v7, v7
	v_fmac_f32_e32 v4, 0xcf800000, v7
	v_cvt_u32_f32_e32 v7, v7
	v_cvt_u32_f32_e32 v4, v4
	v_mul_lo_u32 v8, s0, v7
	v_mul_hi_u32 v9, s0, v4
	v_mul_lo_u32 v10, s20, v4
	v_add_nc_u32_e32 v8, v9, v8
	v_mul_lo_u32 v9, s0, v4
	v_add_nc_u32_e32 v8, v8, v10
	v_mul_hi_u32 v10, v4, v9
	v_mul_lo_u32 v11, v4, v8
	v_mul_hi_u32 v12, v4, v8
	v_mul_hi_u32 v13, v7, v9
	v_mul_lo_u32 v9, v7, v9
	v_mul_hi_u32 v14, v7, v8
	v_mul_lo_u32 v8, v7, v8
	v_add_co_u32 v10, vcc_lo, v10, v11
	v_add_co_ci_u32_e32 v11, vcc_lo, 0, v12, vcc_lo
	v_add_co_u32 v9, vcc_lo, v10, v9
	v_add_co_ci_u32_e32 v9, vcc_lo, v11, v13, vcc_lo
	v_add_co_ci_u32_e32 v10, vcc_lo, 0, v14, vcc_lo
	v_add_co_u32 v8, vcc_lo, v9, v8
	v_add_co_ci_u32_e32 v9, vcc_lo, 0, v10, vcc_lo
	v_add_co_u32 v4, vcc_lo, v4, v8
	v_add_co_ci_u32_e32 v7, vcc_lo, v7, v9, vcc_lo
	v_mul_hi_u32 v8, s0, v4
	v_mul_lo_u32 v10, s20, v4
	v_mul_lo_u32 v9, s0, v7
	v_add_nc_u32_e32 v8, v8, v9
	v_mul_lo_u32 v9, s0, v4
	v_add_nc_u32_e32 v8, v8, v10
	v_mul_hi_u32 v10, v4, v9
	v_mul_lo_u32 v11, v4, v8
	v_mul_hi_u32 v12, v4, v8
	v_mul_hi_u32 v13, v7, v9
	v_mul_lo_u32 v9, v7, v9
	v_mul_hi_u32 v14, v7, v8
	v_mul_lo_u32 v8, v7, v8
	v_add_co_u32 v10, vcc_lo, v10, v11
	v_add_co_ci_u32_e32 v11, vcc_lo, 0, v12, vcc_lo
	v_add_co_u32 v9, vcc_lo, v10, v9
	v_add_co_ci_u32_e32 v9, vcc_lo, v11, v13, vcc_lo
	v_add_co_ci_u32_e32 v10, vcc_lo, 0, v14, vcc_lo
	v_add_co_u32 v8, vcc_lo, v9, v8
	v_add_co_ci_u32_e32 v9, vcc_lo, 0, v10, vcc_lo
	v_add_co_u32 v4, vcc_lo, v4, v8
	v_add_co_ci_u32_e32 v11, vcc_lo, v7, v9, vcc_lo
	v_mul_hi_u32 v13, v5, v4
	v_mad_u64_u32 v[9:10], null, v6, v4, 0
	v_mad_u64_u32 v[7:8], null, v5, v11, 0
	;; [unrolled: 1-line block ×3, first 2 shown]
	v_add_co_u32 v4, vcc_lo, v13, v7
	v_add_co_ci_u32_e32 v7, vcc_lo, 0, v8, vcc_lo
	v_add_co_u32 v4, vcc_lo, v4, v9
	v_add_co_ci_u32_e32 v4, vcc_lo, v7, v10, vcc_lo
	v_add_co_ci_u32_e32 v7, vcc_lo, 0, v12, vcc_lo
	v_add_co_u32 v4, vcc_lo, v4, v11
	v_add_co_ci_u32_e32 v9, vcc_lo, 0, v7, vcc_lo
	v_mul_lo_u32 v10, s19, v4
	v_mad_u64_u32 v[7:8], null, s18, v4, 0
	v_mul_lo_u32 v11, s18, v9
	v_sub_co_u32 v7, vcc_lo, v5, v7
	v_add3_u32 v8, v8, v11, v10
	v_sub_nc_u32_e32 v10, v6, v8
	v_subrev_co_ci_u32_e64 v10, s0, s19, v10, vcc_lo
	v_add_co_u32 v11, s0, v4, 2
	v_add_co_ci_u32_e64 v12, s0, 0, v9, s0
	v_sub_co_u32 v13, s0, v7, s18
	v_sub_co_ci_u32_e32 v8, vcc_lo, v6, v8, vcc_lo
	v_subrev_co_ci_u32_e64 v10, s0, 0, v10, s0
	v_cmp_le_u32_e32 vcc_lo, s18, v13
	v_cmp_eq_u32_e64 s0, s19, v8
	v_cndmask_b32_e64 v13, 0, -1, vcc_lo
	v_cmp_le_u32_e32 vcc_lo, s19, v10
	v_cndmask_b32_e64 v14, 0, -1, vcc_lo
	v_cmp_le_u32_e32 vcc_lo, s18, v7
	;; [unrolled: 2-line block ×3, first 2 shown]
	v_cndmask_b32_e64 v15, 0, -1, vcc_lo
	v_cmp_eq_u32_e32 vcc_lo, s19, v10
	v_cndmask_b32_e64 v7, v15, v7, s0
	v_cndmask_b32_e32 v10, v14, v13, vcc_lo
	v_add_co_u32 v13, vcc_lo, v4, 1
	v_add_co_ci_u32_e32 v14, vcc_lo, 0, v9, vcc_lo
	v_cmp_ne_u32_e32 vcc_lo, 0, v10
	v_cndmask_b32_e32 v8, v14, v12, vcc_lo
	v_cndmask_b32_e32 v10, v13, v11, vcc_lo
	v_cmp_ne_u32_e32 vcc_lo, 0, v7
	v_cndmask_b32_e32 v8, v9, v8, vcc_lo
	v_cndmask_b32_e32 v7, v4, v10, vcc_lo
.LBB0_4:                                ;   in Loop: Header=BB0_2 Depth=1
	s_andn2_saveexec_b32 s0, s1
	s_cbranch_execz .LBB0_6
; %bb.5:                                ;   in Loop: Header=BB0_2 Depth=1
	v_cvt_f32_u32_e32 v4, s18
	s_sub_i32 s1, 0, s18
	v_rcp_iflag_f32_e32 v4, v4
	v_mul_f32_e32 v4, 0x4f7ffffe, v4
	v_cvt_u32_f32_e32 v4, v4
	v_mul_lo_u32 v7, s1, v4
	v_mul_hi_u32 v7, v4, v7
	v_add_nc_u32_e32 v4, v4, v7
	v_mul_hi_u32 v4, v5, v4
	v_mul_lo_u32 v7, v4, s18
	v_add_nc_u32_e32 v8, 1, v4
	v_sub_nc_u32_e32 v7, v5, v7
	v_subrev_nc_u32_e32 v9, s18, v7
	v_cmp_le_u32_e32 vcc_lo, s18, v7
	v_cndmask_b32_e32 v7, v7, v9, vcc_lo
	v_cndmask_b32_e32 v4, v4, v8, vcc_lo
	v_cmp_le_u32_e32 vcc_lo, s18, v7
	v_add_nc_u32_e32 v8, 1, v4
	v_cndmask_b32_e32 v7, v4, v8, vcc_lo
	v_mov_b32_e32 v8, v3
.LBB0_6:                                ;   in Loop: Header=BB0_2 Depth=1
	s_or_b32 exec_lo, exec_lo, s0
	s_load_dwordx2 s[0:1], s[6:7], 0x0
	v_mul_lo_u32 v4, v8, s18
	v_mul_lo_u32 v11, v7, s19
	v_mad_u64_u32 v[9:10], null, v7, s18, 0
	s_add_u32 s16, s16, 1
	s_addc_u32 s17, s17, 0
	s_add_u32 s6, s6, 8
	s_addc_u32 s7, s7, 0
	;; [unrolled: 2-line block ×3, first 2 shown]
	v_add3_u32 v4, v10, v11, v4
	v_sub_co_u32 v5, vcc_lo, v5, v9
	v_sub_co_ci_u32_e32 v4, vcc_lo, v6, v4, vcc_lo
	s_waitcnt lgkmcnt(0)
	v_mul_lo_u32 v6, s1, v5
	v_mul_lo_u32 v4, s0, v4
	v_mad_u64_u32 v[1:2], null, s0, v5, v[1:2]
	v_cmp_ge_u64_e64 s0, s[16:17], s[10:11]
	s_and_b32 vcc_lo, exec_lo, s0
	v_add3_u32 v2, v6, v2, v4
	s_cbranch_vccnz .LBB0_9
; %bb.7:                                ;   in Loop: Header=BB0_2 Depth=1
	v_mov_b32_e32 v5, v7
	v_mov_b32_e32 v6, v8
	s_branch .LBB0_2
.LBB0_8:
	v_mov_b32_e32 v8, v6
	v_mov_b32_e32 v7, v5
.LBB0_9:
	s_lshl_b64 s[0:1], s[10:11], 3
	v_mul_hi_u32 v3, 0x3030304, v0
	s_add_u32 s0, s12, s0
	s_addc_u32 s1, s13, s1
	s_load_dwordx2 s[0:1], s[0:1], 0x0
	s_load_dwordx2 s[4:5], s[4:5], 0x20
	v_mul_u32_u24_e32 v3, 0x55, v3
	v_sub_nc_u32_e32 v32, v0, v3
	v_add_nc_u32_e32 v36, 0x55, v32
	s_waitcnt lgkmcnt(0)
	v_mul_lo_u32 v4, s0, v8
	v_mul_lo_u32 v5, s1, v7
	v_mad_u64_u32 v[1:2], null, s0, v7, v[1:2]
	v_cmp_gt_u64_e32 vcc_lo, s[4:5], v[7:8]
	v_cmp_le_u64_e64 s0, s[4:5], v[7:8]
	v_add3_u32 v2, v5, v2, v4
	s_and_saveexec_b32 s1, s0
	s_xor_b32 s0, exec_lo, s1
; %bb.10:
	v_add_nc_u32_e32 v36, 0x55, v32
; %bb.11:
	s_or_saveexec_b32 s1, s0
	v_lshlrev_b64 v[34:35], 3, v[1:2]
	v_lshl_add_u32 v39, v32, 3, 0
	s_xor_b32 exec_lo, exec_lo, s1
	s_cbranch_execz .LBB0_13
; %bb.12:
	v_mov_b32_e32 v33, 0
	v_add_co_u32 v2, s0, s2, v34
	v_add_co_ci_u32_e64 v3, s0, s3, v35, s0
	v_lshlrev_b64 v[0:1], 3, v[32:33]
	v_add_nc_u32_e32 v20, 0x800, v39
	v_add_nc_u32_e32 v21, 0xc00, v39
	;; [unrolled: 1-line block ×3, first 2 shown]
	v_add_co_u32 v0, s0, v2, v0
	v_add_co_ci_u32_e64 v1, s0, v3, v1, s0
	v_add_co_u32 v2, s0, 0x800, v0
	v_add_co_ci_u32_e64 v3, s0, 0, v1, s0
	;; [unrolled: 2-line block ×3, first 2 shown]
	s_clause 0x9
	global_load_dwordx2 v[6:7], v[0:1], off
	global_load_dwordx2 v[8:9], v[0:1], off offset:680
	global_load_dwordx2 v[10:11], v[0:1], off offset:1360
	global_load_dwordx2 v[0:1], v[0:1], off offset:2040
	global_load_dwordx2 v[12:13], v[2:3], off offset:672
	global_load_dwordx2 v[14:15], v[2:3], off offset:1352
	global_load_dwordx2 v[2:3], v[2:3], off offset:2032
	global_load_dwordx2 v[16:17], v[4:5], off offset:664
	global_load_dwordx2 v[18:19], v[4:5], off offset:1344
	global_load_dwordx2 v[4:5], v[4:5], off offset:2024
	s_waitcnt vmcnt(8)
	ds_write2_b64 v39, v[6:7], v[8:9] offset1:85
	s_waitcnt vmcnt(6)
	ds_write2_b64 v39, v[10:11], v[0:1] offset0:170 offset1:255
	s_waitcnt vmcnt(4)
	ds_write2_b64 v20, v[12:13], v[14:15] offset0:84 offset1:169
	;; [unrolled: 2-line block ×4, first 2 shown]
.LBB0_13:
	s_or_b32 exec_lo, exec_lo, s1
	v_add_nc_u32_e32 v21, 0x800, v39
	v_add_nc_u32_e32 v20, 0xc00, v39
	;; [unrolled: 1-line block ×3, first 2 shown]
	s_waitcnt lgkmcnt(0)
	s_barrier
	buffer_gl0_inv
	ds_read2_b64 v[0:3], v39 offset1:85
	ds_read2_b64 v[4:7], v39 offset0:170 offset1:255
	ds_read2_b64 v[8:11], v21 offset0:84 offset1:169
	;; [unrolled: 1-line block ×4, first 2 shown]
	s_waitcnt lgkmcnt(0)
	s_barrier
	buffer_gl0_inv
	v_cmp_gt_u32_e64 s0, 50, v32
	v_add_f32_e32 v22, v0, v4
	v_add_f32_e32 v24, v8, v12
	v_sub_f32_e32 v27, v4, v8
	v_sub_f32_e32 v29, v16, v12
	v_add_f32_e32 v30, v4, v16
	v_add_f32_e32 v22, v22, v8
	v_sub_f32_e32 v25, v5, v17
	v_sub_f32_e32 v26, v9, v13
	;; [unrolled: 1-line block ×4, first 2 shown]
	v_add_f32_e32 v37, v9, v13
	v_fma_f32 v24, -0.5, v24, v0
	v_add_f32_e32 v27, v27, v29
	v_fma_f32 v29, -0.5, v30, v0
	v_add_f32_e32 v23, v1, v5
	v_sub_f32_e32 v4, v4, v16
	v_add_f32_e32 v38, v5, v17
	v_add_f32_e32 v22, v22, v12
	;; [unrolled: 1-line block ×3, first 2 shown]
	v_fma_f32 v30, -0.5, v37, v1
	v_fmamk_f32 v31, v25, 0x3f737871, v24
	v_fmac_f32_e32 v24, 0xbf737871, v25
	v_fmamk_f32 v33, v26, 0xbf737871, v29
	v_fmac_f32_e32 v29, 0x3f737871, v26
	v_add_f32_e32 v23, v23, v9
	v_add_f32_e32 v16, v22, v16
	v_fmac_f32_e32 v31, 0x3f167918, v26
	v_fmac_f32_e32 v24, 0xbf167918, v26
	;; [unrolled: 1-line block ×3, first 2 shown]
	v_fmamk_f32 v22, v4, 0xbf737871, v30
	v_fmac_f32_e32 v29, 0xbf167918, v25
	v_sub_f32_e32 v8, v8, v12
	v_sub_f32_e32 v12, v5, v9
	;; [unrolled: 1-line block ×3, first 2 shown]
	v_fma_f32 v26, -0.5, v38, v1
	v_fmac_f32_e32 v30, 0x3f737871, v4
	v_sub_f32_e32 v1, v9, v5
	v_sub_f32_e32 v5, v13, v17
	v_add_f32_e32 v9, v2, v6
	v_fmac_f32_e32 v33, 0x3e9e377a, v0
	v_fmac_f32_e32 v29, 0x3e9e377a, v0
	;; [unrolled: 1-line block ×3, first 2 shown]
	v_add_f32_e32 v0, v12, v25
	v_fmamk_f32 v25, v8, 0x3f737871, v26
	v_fmac_f32_e32 v30, 0x3f167918, v8
	v_add_f32_e32 v1, v1, v5
	v_fmac_f32_e32 v26, 0xbf737871, v8
	v_add_f32_e32 v5, v9, v10
	v_add_f32_e32 v8, v10, v14
	v_fmac_f32_e32 v22, 0x3e9e377a, v0
	v_fmac_f32_e32 v25, 0xbf167918, v4
	;; [unrolled: 1-line block ×4, first 2 shown]
	v_add_f32_e32 v0, v5, v14
	v_fma_f32 v5, -0.5, v8, v2
	v_add_f32_e32 v4, v6, v18
	v_sub_f32_e32 v8, v7, v19
	v_fmac_f32_e32 v25, 0x3e9e377a, v1
	v_fmac_f32_e32 v26, 0x3e9e377a, v1
	v_add_f32_e32 v12, v0, v18
	v_sub_f32_e32 v0, v11, v15
	v_fma_f32 v1, -0.5, v4, v2
	v_fmamk_f32 v9, v8, 0x3f737871, v5
	v_sub_f32_e32 v2, v6, v10
	v_sub_f32_e32 v4, v18, v14
	v_fmac_f32_e32 v5, 0xbf737871, v8
	v_add_f32_e32 v23, v23, v13
	v_fmac_f32_e32 v9, 0x3f167918, v0
	v_fmac_f32_e32 v31, 0x3e9e377a, v27
	v_add_f32_e32 v2, v2, v4
	v_fmac_f32_e32 v5, 0xbf167918, v0
	v_fmac_f32_e32 v24, 0x3e9e377a, v27
	v_add_f32_e32 v23, v23, v17
	v_fmamk_f32 v13, v0, 0xbf737871, v1
	v_sub_f32_e32 v17, v10, v6
	v_sub_f32_e32 v27, v14, v18
	v_fmac_f32_e32 v1, 0x3f737871, v0
	v_fmac_f32_e32 v9, 0x3e9e377a, v2
	;; [unrolled: 1-line block ×3, first 2 shown]
	v_add_f32_e32 v0, v11, v15
	v_add_f32_e32 v2, v7, v19
	v_fmac_f32_e32 v13, 0x3f167918, v8
	v_add_f32_e32 v4, v17, v27
	v_fmac_f32_e32 v1, 0xbf167918, v8
	v_add_f32_e32 v8, v3, v7
	v_fma_f32 v17, -0.5, v0, v3
	v_sub_f32_e32 v0, v6, v18
	v_sub_f32_e32 v6, v10, v14
	v_fmac_f32_e32 v3, -0.5, v2
	v_fmac_f32_e32 v13, 0x3e9e377a, v4
	v_fmac_f32_e32 v1, 0x3e9e377a, v4
	v_add_f32_e32 v2, v8, v11
	v_sub_f32_e32 v4, v7, v11
	v_fmamk_f32 v14, v6, 0x3f737871, v3
	v_sub_f32_e32 v7, v11, v7
	v_sub_f32_e32 v8, v15, v19
	v_fmamk_f32 v10, v0, 0xbf737871, v17
	v_sub_f32_e32 v11, v19, v15
	v_fmac_f32_e32 v14, 0xbf167918, v0
	v_fmac_f32_e32 v3, 0xbf737871, v6
	v_add_f32_e32 v7, v7, v8
	v_fmac_f32_e32 v10, 0xbf167918, v6
	v_add_f32_e32 v4, v4, v11
	v_fmac_f32_e32 v17, 0x3f737871, v0
	v_fmac_f32_e32 v3, 0x3f167918, v0
	;; [unrolled: 1-line block ×3, first 2 shown]
	v_add_f32_e32 v0, v2, v15
	v_fmac_f32_e32 v10, 0x3e9e377a, v4
	v_fmac_f32_e32 v17, 0x3f167918, v6
	;; [unrolled: 1-line block ×3, first 2 shown]
	v_mul_f32_e32 v15, 0x3f737871, v14
	v_mul_f32_e32 v11, 0x3f4f1bbd, v9
	;; [unrolled: 1-line block ×5, first 2 shown]
	v_fmac_f32_e32 v15, 0x3e9e377a, v13
	v_add_f32_e32 v19, v0, v19
	v_fmac_f32_e32 v17, 0x3e9e377a, v4
	v_fmac_f32_e32 v11, 0x3f167918, v10
	v_fma_f32 v18, 0x3f737871, v3, -v2
	v_mul_f32_e32 v7, 0x3f4f1bbd, v5
	v_add_f32_e32 v4, v33, v15
	v_mul_f32_e32 v3, 0x3e9e377a, v3
	v_fmac_f32_e32 v37, 0x3f4f1bbd, v10
	v_fmac_f32_e32 v38, 0x3e9e377a, v14
	v_sub_f32_e32 v14, v33, v15
	v_and_b32_e32 v15, 0xff, v32
	v_add_f32_e32 v0, v16, v12
	v_add_f32_e32 v2, v31, v11
	v_fma_f32 v27, 0x3f167918, v17, -v7
	v_mul_f32_e32 v7, 0x3f4f1bbd, v17
	v_fma_f32 v17, 0xbf737871, v1, -v3
	v_add_f32_e32 v1, v23, v19
	v_add_f32_e32 v3, v22, v37
	v_sub_f32_e32 v10, v16, v12
	v_sub_f32_e32 v12, v31, v11
	;; [unrolled: 1-line block ×4, first 2 shown]
	v_mul_lo_u16 v22, 0xcd, v15
	v_and_b32_e32 v23, 0xff, v36
	v_fma_f32 v40, 0xbf167918, v5, -v7
	v_add_f32_e32 v7, v26, v17
	v_sub_f32_e32 v17, v26, v17
	v_lshrrev_b16 v26, 11, v22
	v_mad_u32_u24 v22, 0x48, v32, v39
	v_mul_lo_u16 v23, 0xcd, v23
	v_add_f32_e32 v6, v29, v18
	v_add_f32_e32 v5, v25, v38
	ds_write2_b64 v22, v[0:1], v[2:3] offset1:1
	ds_write2_b64 v22, v[4:5], v[6:7] offset0:2 offset1:3
	v_lshrrev_b16 v4, 11, v23
	v_add_f32_e32 v8, v24, v27
	v_sub_f32_e32 v16, v29, v18
	v_sub_f32_e32 v18, v24, v27
	v_mul_lo_u16 v24, v26, 10
	v_add_f32_e32 v9, v30, v40
	v_sub_f32_e32 v19, v30, v40
	v_mul_lo_u16 v0, v4, 10
	v_sub_f32_e32 v15, v25, v38
	v_sub_nc_u16 v5, v32, v24
	v_mov_b32_e32 v6, 5
	ds_write2_b64 v22, v[8:9], v[10:11] offset0:4 offset1:5
	ds_write2_b64 v22, v[12:13], v[14:15] offset0:6 offset1:7
	;; [unrolled: 1-line block ×3, first 2 shown]
	v_sub_nc_u16 v18, v36, v0
	v_lshlrev_b32_sdwa v7, v6, v5 dst_sel:DWORD dst_unused:UNUSED_PAD src0_sel:DWORD src1_sel:BYTE_0
	s_waitcnt lgkmcnt(0)
	s_barrier
	buffer_gl0_inv
	v_lshlrev_b32_sdwa v14, v6, v18 dst_sel:DWORD dst_unused:UNUSED_PAD src0_sel:DWORD src1_sel:BYTE_0
	s_clause 0x3
	global_load_dwordx4 v[0:3], v7, s[8:9]
	global_load_dwordx4 v[6:9], v7, s[8:9] offset:16
	global_load_dwordx4 v[10:13], v14, s[8:9]
	global_load_dwordx4 v[14:17], v14, s[8:9] offset:16
	v_add_nc_u32_e32 v19, 0x400, v39
	v_mov_b32_e32 v27, 0x190
	ds_read2_b64 v[22:25], v39 offset1:170
	v_lshl_add_u32 v40, v36, 3, 0
	ds_read2_b64 v[41:44], v19 offset0:127 offset1:212
	v_mov_b32_e32 v19, 3
	ds_read2_b64 v[45:48], v21 offset0:169 offset1:254
	ds_read2_b64 v[49:52], v28 offset0:83 offset1:168
	v_mul_u32_u24_sdwa v26, v26, v27 dst_sel:DWORD dst_unused:UNUSED_PAD src0_sel:WORD_0 src1_sel:DWORD
	v_mul_u32_u24_sdwa v4, v4, v27 dst_sel:DWORD dst_unused:UNUSED_PAD src0_sel:WORD_0 src1_sel:DWORD
	v_lshlrev_b32_sdwa v5, v19, v5 dst_sel:DWORD dst_unused:UNUSED_PAD src0_sel:DWORD src1_sel:BYTE_0
	v_lshlrev_b32_sdwa v27, v19, v18 dst_sel:DWORD dst_unused:UNUSED_PAD src0_sel:DWORD src1_sel:BYTE_0
	ds_read_b64 v[18:19], v39 offset:6120
	v_add3_u32 v26, 0, v26, v5
	v_add3_u32 v27, 0, v4, v27
	ds_read_b64 v[4:5], v40
	s_waitcnt vmcnt(0) lgkmcnt(0)
	s_barrier
	buffer_gl0_inv
	v_mul_f32_e32 v29, v1, v25
	v_mul_f32_e32 v1, v1, v24
	;; [unrolled: 1-line block ×16, first 2 shown]
	v_fma_f32 v17, v0, v24, -v29
	v_fmac_f32_e32 v1, v0, v25
	v_fma_f32 v0, v2, v43, -v30
	v_fmac_f32_e32 v3, v2, v44
	;; [unrolled: 2-line block ×8, first 2 shown]
	v_add_f32_e32 v12, v22, v17
	v_add_f32_e32 v8, v0, v2
	v_sub_f32_e32 v29, v1, v37
	v_sub_f32_e32 v16, v17, v0
	v_add_f32_e32 v14, v17, v24
	v_sub_f32_e32 v19, v0, v17
	v_sub_f32_e32 v31, v2, v24
	v_add_f32_e32 v38, v23, v1
	v_add_f32_e32 v9, v3, v33
	v_sub_f32_e32 v41, v17, v24
	v_sub_f32_e32 v17, v1, v3
	;; [unrolled: 1-line block ×3, first 2 shown]
	v_add_f32_e32 v15, v1, v37
	v_sub_f32_e32 v1, v3, v1
	v_sub_f32_e32 v44, v33, v37
	v_add_f32_e32 v45, v4, v6
	v_add_f32_e32 v46, v7, v10
	;; [unrolled: 1-line block ×6, first 2 shown]
	v_sub_f32_e32 v30, v3, v33
	v_sub_f32_e32 v18, v24, v2
	;; [unrolled: 1-line block ×12, first 2 shown]
	v_fma_f32 v8, -0.5, v8, v22
	v_fma_f32 v9, -0.5, v9, v23
	;; [unrolled: 1-line block ×4, first 2 shown]
	v_add_f32_e32 v0, v12, v0
	v_add_f32_e32 v23, v19, v31
	;; [unrolled: 1-line block ×6, first 2 shown]
	v_fma_f32 v6, -0.5, v46, v4
	v_fma_f32 v4, -0.5, v51, v4
	v_add_f32_e32 v17, v56, v13
	v_fma_f32 v7, -0.5, v57, v5
	v_fmac_f32_e32 v5, -0.5, v62
	v_sub_f32_e32 v50, v25, v10
	v_sub_f32_e32 v53, v10, v25
	;; [unrolled: 1-line block ×3, first 2 shown]
	v_add_f32_e32 v22, v16, v18
	v_add_f32_e32 v46, v11, v63
	v_add_f32_e32 v0, v0, v2
	v_fmamk_f32 v2, v29, 0x3f737871, v8
	v_fmac_f32_e32 v8, 0xbf737871, v29
	v_fmamk_f32 v12, v30, 0xbf737871, v14
	v_fmac_f32_e32 v14, 0x3f737871, v30
	v_add_f32_e32 v11, v3, v33
	v_fmamk_f32 v3, v41, 0xbf737871, v9
	v_fmac_f32_e32 v9, 0x3f737871, v41
	v_fmamk_f32 v13, v42, 0x3f737871, v15
	v_fmac_f32_e32 v15, 0xbf737871, v42
	;; [unrolled: 2-line block ×4, first 2 shown]
	v_add_f32_e32 v33, v17, v54
	v_fmamk_f32 v17, v58, 0xbf737871, v7
	v_fmac_f32_e32 v7, 0x3f737871, v58
	v_fmamk_f32 v19, v59, 0x3f737871, v5
	v_fmac_f32_e32 v5, 0xbf737871, v59
	v_add_f32_e32 v43, v49, v50
	v_add_f32_e32 v44, v52, v53
	;; [unrolled: 1-line block ×4, first 2 shown]
	v_fmac_f32_e32 v2, 0x3f167918, v30
	v_fmac_f32_e32 v8, 0xbf167918, v30
	;; [unrolled: 1-line block ×16, first 2 shown]
	v_add_f32_e32 v0, v0, v24
	v_add_f32_e32 v1, v11, v37
	;; [unrolled: 1-line block ×4, first 2 shown]
	v_fmac_f32_e32 v2, 0x3e9e377a, v22
	v_fmac_f32_e32 v8, 0x3e9e377a, v22
	v_fmac_f32_e32 v12, 0x3e9e377a, v23
	v_fmac_f32_e32 v14, 0x3e9e377a, v23
	v_fmac_f32_e32 v3, 0x3e9e377a, v31
	v_fmac_f32_e32 v9, 0x3e9e377a, v31
	v_fmac_f32_e32 v13, 0x3e9e377a, v38
	v_fmac_f32_e32 v15, 0x3e9e377a, v38
	v_fmac_f32_e32 v16, 0x3e9e377a, v43
	v_fmac_f32_e32 v6, 0x3e9e377a, v43
	v_fmac_f32_e32 v18, 0x3e9e377a, v44
	v_fmac_f32_e32 v4, 0x3e9e377a, v44
	v_fmac_f32_e32 v17, 0x3e9e377a, v45
	v_fmac_f32_e32 v7, 0x3e9e377a, v45
	v_fmac_f32_e32 v19, 0x3e9e377a, v46
	v_fmac_f32_e32 v5, 0x3e9e377a, v46
	ds_write2_b64 v26, v[0:1], v[2:3] offset1:10
	ds_write2_b64 v26, v[12:13], v[14:15] offset0:20 offset1:30
	ds_write_b64 v26, v[8:9] offset:320
	ds_write2_b64 v27, v[10:11], v[16:17] offset1:10
	ds_write2_b64 v27, v[18:19], v[4:5] offset0:20 offset1:30
	ds_write_b64 v27, v[6:7] offset:320
	s_waitcnt lgkmcnt(0)
	s_barrier
	buffer_gl0_inv
                                        ; implicit-def: $vgpr38
                                        ; implicit-def: $vgpr31
                                        ; implicit-def: $vgpr27
                                        ; implicit-def: $vgpr23
	s_and_saveexec_b32 s1, s0
	s_cbranch_execz .LBB0_15
; %bb.14:
	ds_read2_b64 v[0:3], v39 offset1:50
	ds_read2_b64 v[12:15], v39 offset0:100 offset1:150
	ds_read2_b64 v[8:11], v39 offset0:200 offset1:250
	;; [unrolled: 1-line block ×7, first 2 shown]
	ds_read_b64 v[37:38], v39 offset:6400
.LBB0_15:
	s_or_b32 exec_lo, exec_lo, s1
	s_waitcnt lgkmcnt(0)
	s_barrier
	buffer_gl0_inv
	s_and_saveexec_b32 s1, s0
	s_cbranch_execz .LBB0_17
; %bb.16:
	v_lshlrev_b32_e32 v33, 4, v32
	v_mov_b32_e32 v42, 0
	v_add_nc_u32_e32 v41, 0xfffffce0, v33
	v_cndmask_b32_e64 v41, v41, v33, s0
	v_lshlrev_b64 v[41:42], 3, v[41:42]
	v_add_co_u32 v41, s0, s8, v41
	v_add_co_ci_u32_e64 v42, s0, s9, v42, s0
	s_clause 0x7
	global_load_dwordx4 v[56:59], v[41:42], off offset:432
	global_load_dwordx4 v[60:63], v[41:42], off offset:320
	;; [unrolled: 1-line block ×8, first 2 shown]
	buffer_store_dword v34, off, s[24:27], 0 ; 4-byte Folded Spill
	buffer_store_dword v35, off, s[24:27], 0 offset:4 ; 4-byte Folded Spill
	s_waitcnt vmcnt(7)
	v_mul_f32_e32 v88, v38, v59
	v_mul_f32_e32 v33, v37, v59
	s_waitcnt vmcnt(6)
	v_mul_f32_e32 v59, v3, v61
	v_mul_f32_e32 v55, v2, v61
	;; [unrolled: 1-line block ×6, first 2 shown]
	s_waitcnt vmcnt(5)
	v_mul_f32_e32 v61, v29, v67
	v_mul_f32_e32 v42, v28, v67
	s_waitcnt vmcnt(4)
	v_mul_f32_e32 v63, v15, v69
	v_mul_f32_e32 v49, v14, v69
	;; [unrolled: 1-line block ×6, first 2 shown]
	s_waitcnt vmcnt(3)
	v_mul_f32_e32 v69, v25, v75
	v_mul_f32_e32 v44, v24, v75
	s_waitcnt vmcnt(2)
	v_mul_f32_e32 v71, v11, v77
	v_mul_f32_e32 v46, v10, v77
	;; [unrolled: 1-line block ×3, first 2 shown]
	s_waitcnt vmcnt(1)
	v_mul_f32_e32 v77, v19, v81
	v_mul_f32_e32 v52, v18, v81
	v_mul_f32_e32 v81, v5, v83
	v_fma_f32 v37, v37, v58, -v88
	v_fmac_f32_e32 v33, v38, v58
	v_fma_f32 v38, v2, v60, -v59
	v_fmac_f32_e32 v55, v3, v60
	v_mul_f32_e32 v45, v22, v73
	v_mul_f32_e32 v54, v4, v83
	v_fma_f32 v30, v30, v56, -v89
	v_fmac_f32_e32 v41, v31, v56
	v_fma_f32 v31, v12, v62, -v57
	v_fmac_f32_e32 v51, v13, v62
	v_fmac_f32_e32 v49, v15, v68
	v_fma_f32 v15, v22, v72, -v75
	v_fma_f32 v22, v18, v80, -v77
	;; [unrolled: 1-line block ×3, first 2 shown]
	v_sub_f32_e32 v4, v38, v37
	v_sub_f32_e32 v3, v55, v33
	v_mul_f32_e32 v73, v17, v79
	v_mul_f32_e32 v50, v16, v79
	s_waitcnt vmcnt(0)
	v_mul_f32_e32 v79, v21, v87
	v_mul_f32_e32 v47, v20, v87
	;; [unrolled: 1-line block ×4, first 2 shown]
	v_fma_f32 v12, v28, v66, -v61
	v_fmac_f32_e32 v42, v29, v66
	v_fma_f32 v28, v14, v68, -v63
	v_fma_f32 v14, v24, v74, -v69
	v_fma_f32 v24, v10, v76, -v71
	v_fmac_f32_e32 v54, v5, v82
	v_add_f32_e32 v2, v55, v33
	v_add_f32_e32 v5, v38, v37
	v_sub_f32_e32 v10, v31, v30
	v_sub_f32_e32 v135, v51, v41
	v_mul_f32_e32 v151, 0xbf763a35, v4
	v_mul_f32_e32 v155, 0xbf763a35, v3
	v_fma_f32 v13, v26, v64, -v67
	v_fmac_f32_e32 v43, v27, v64
	v_fma_f32 v26, v8, v70, -v65
	v_fmac_f32_e32 v48, v9, v70
	v_fmac_f32_e32 v46, v11, v76
	;; [unrolled: 1-line block ×4, first 2 shown]
	v_fma_f32 v17, v6, v84, -v87
	v_fmac_f32_e32 v53, v7, v84
	v_add_f32_e32 v57, v51, v41
	v_add_f32_e32 v21, v31, v30
	v_sub_f32_e32 v148, v28, v12
	v_sub_f32_e32 v136, v49, v42
	v_mul_f32_e32 v6, 0xbe3c28d5, v4
	v_mul_f32_e32 v7, 0xbe3c28d5, v3
	;; [unrolled: 1-line block ×12, first 2 shown]
	v_fmamk_f32 v162, v2, 0xbe8c1d8e, v151
	v_fma_f32 v169, 0xbe8c1d8e, v5, -v155
	v_fmac_f32_e32 v44, v25, v74
	v_fmac_f32_e32 v45, v23, v72
	v_fma_f32 v23, v16, v78, -v73
	v_fma_f32 v16, v20, v86, -v79
	v_add_f32_e32 v58, v49, v42
	v_add_f32_e32 v20, v28, v12
	v_sub_f32_e32 v149, v26, v13
	v_sub_f32_e32 v137, v48, v43
	v_mul_f32_e32 v156, 0xbf7ee86f, v3
	v_mul_f32_e32 v157, 0xbf65296c, v3
	;; [unrolled: 1-line block ×13, first 2 shown]
	v_fmamk_f32 v158, v2, 0xbf7ba420, v6
	v_fmamk_f32 v159, v2, 0xbf59a7d5, v8
	;; [unrolled: 1-line block ×7, first 2 shown]
	v_fma_f32 v6, 0xbf7ba420, v2, -v6
	v_fma_f32 v8, 0xbf59a7d5, v2, -v8
	;; [unrolled: 1-line block ×9, first 2 shown]
	v_fmac_f32_e32 v7, 0xbf7ba420, v5
	v_fma_f32 v154, 0xbf59a7d5, v5, -v9
	v_fma_f32 v168, 0xbf1a4643, v5, -v150
	v_fmamk_f32 v189, v57, 0xbf59a7d5, v123
	v_fma_f32 v190, 0xbf59a7d5, v21, -v84
	v_add_f32_e32 v162, v1, v162
	v_add_f32_e32 v169, v0, v169
	v_fmac_f32_e32 v52, v19, v80
	v_add_f32_e32 v56, v48, v43
	v_add_f32_e32 v19, v26, v13
	v_sub_f32_e32 v147, v24, v14
	v_sub_f32_e32 v138, v46, v44
	v_mul_f32_e32 v142, 0xbf06c442, v148
	v_mul_f32_e32 v131, 0xbf06c442, v136
	v_mul_f32_e32 v128, 0xbf7ee86f, v148
	v_mul_f32_e32 v106, 0xbf7ee86f, v136
	v_mul_f32_e32 v126, 0xbeb8f4ab, v148
	v_mul_f32_e32 v95, 0xbeb8f4ab, v136
	v_mul_f32_e32 v109, 0xbf65296c, v149
	v_mul_f32_e32 v86, 0xbf65296c, v137
	v_mul_f32_e32 v87, 0xbe3c28d5, v135
	v_mul_f32_e32 v98, 0x3f763a35, v148
	v_fmac_f32_e32 v9, 0xbf59a7d5, v5
	v_fmac_f32_e32 v150, 0xbf1a4643, v5
	;; [unrolled: 1-line block ×3, first 2 shown]
	v_fma_f32 v170, 0x3dbcf732, v5, -v156
	v_fmac_f32_e32 v156, 0x3dbcf732, v5
	v_fma_f32 v171, 0x3ee437d1, v5, -v157
	v_fmac_f32_e32 v157, 0x3ee437d1, v5
	;; [unrolled: 2-line block ×4, first 2 shown]
	v_fmamk_f32 v5, v57, 0x3f6eb680, v145
	v_fma_f32 v174, 0x3f6eb680, v21, -v133
	v_fmamk_f32 v185, v57, 0x3ee437d1, v127
	v_fma_f32 v186, 0x3ee437d1, v21, -v105
	;; [unrolled: 2-line block ×3, first 2 shown]
	v_fmamk_f32 v191, v57, 0xbf7ba420, v116
	v_fmamk_f32 v199, v58, 0x3f3d2fb0, v124
	v_fma_f32 v200, 0x3f3d2fb0, v20, -v85
	v_add_f32_e32 v245, v1, v158
	v_add_f32_e32 v4, v0, v4
	;; [unrolled: 1-line block ×15, first 2 shown]
	v_sub_f32_e32 v146, v23, v15
	v_sub_f32_e32 v139, v50, v45
	v_mul_f32_e32 v134, 0x3f2c7751, v149
	v_mul_f32_e32 v129, 0x3f2c7751, v137
	;; [unrolled: 1-line block ×10, first 2 shown]
	v_fmamk_f32 v175, v58, 0xbf59a7d5, v142
	v_fma_f32 v176, 0xbf59a7d5, v20, -v131
	v_fma_f32 v192, 0xbf7ba420, v21, -v87
	v_fmamk_f32 v195, v58, 0x3dbcf732, v128
	v_fma_f32 v196, 0x3dbcf732, v20, -v106
	v_fmamk_f32 v197, v58, 0x3f6eb680, v126
	;; [unrolled: 2-line block ×3, first 2 shown]
	v_fmamk_f32 v209, v56, 0x3ee437d1, v109
	v_fma_f32 v210, 0x3ee437d1, v19, -v86
	v_add_f32_e32 v170, v0, v170
	v_add_f32_e32 v164, v1, v164
	;; [unrolled: 1-line block ×32, first 2 shown]
	v_sub_f32_e32 v143, v22, v16
	v_sub_f32_e32 v144, v52, v47
	v_mul_f32_e32 v132, 0xbf4c4adb, v147
	v_mul_f32_e32 v115, 0xbf4c4adb, v138
	v_mul_f32_e32 v119, 0xbeb8f4ab, v147
	v_mul_f32_e32 v83, 0xbeb8f4ab, v138
	v_mul_f32_e32 v113, 0x3f7ee86f, v147
	v_mul_f32_e32 v79, 0x3f7ee86f, v138
	v_mul_f32_e32 v111, 0x3f7ee86f, v146
	v_mul_f32_e32 v66, 0x3f7ee86f, v139
	v_mul_f32_e32 v89, 0x3eb8f4ab, v137
	v_mul_f32_e32 v100, 0xbf65296c, v147
	v_fmamk_f32 v177, v56, 0x3f3d2fb0, v134
	v_fma_f32 v178, 0x3f3d2fb0, v19, -v129
	v_fma_f32 v202, 0xbe8c1d8e, v20, -v88
	v_fmamk_f32 v203, v56, 0xbf1a4643, v118
	v_fma_f32 v204, 0xbf1a4643, v19, -v107
	v_fmamk_f32 v207, v56, 0xbf59a7d5, v112
	v_fma_f32 v208, 0xbf59a7d5, v19, -v96
	v_fmamk_f32 v211, v56, 0x3f6eb680, v99
	v_fmamk_f32 v219, v38, 0xbf7ba420, v110
	v_fma_f32 v220, 0xbf7ba420, v25, -v67
	v_add_f32_e32 v9, v192, v170
	v_add_f32_e32 v0, v175, v0
	;; [unrolled: 1-line block ×12, first 2 shown]
	v_sub_f32_e32 v141, v18, v17
	v_sub_f32_e32 v140, v54, v53
	v_mul_f32_e32 v130, 0x3f65296c, v146
	v_mul_f32_e32 v92, 0x3f65296c, v139
	;; [unrolled: 1-line block ×10, first 2 shown]
	v_fmamk_f32 v179, v38, 0xbf1a4643, v132
	v_fma_f32 v180, 0xbf1a4643, v25, -v115
	v_fmamk_f32 v205, v38, 0x3f6eb680, v119
	v_fma_f32 v206, 0x3f6eb680, v25, -v83
	v_fma_f32 v212, 0x3f6eb680, v19, -v89
	v_fmamk_f32 v217, v38, 0x3dbcf732, v113
	v_fma_f32 v218, 0x3dbcf732, v25, -v79
	v_fmamk_f32 v221, v38, 0x3ee437d1, v100
	v_fmamk_f32 v229, v27, 0x3dbcf732, v111
	v_fma_f32 v230, 0x3dbcf732, v29, -v66
	v_add_f32_e32 v9, v202, v9
	v_add_f32_e32 v0, v177, v0
	;; [unrolled: 1-line block ×12, first 2 shown]
	v_mul_f32_e32 v122, 0xbf763a35, v143
	v_mul_f32_e32 v82, 0xbf763a35, v144
	;; [unrolled: 1-line block ×10, first 2 shown]
	v_fmamk_f32 v181, v27, 0x3ee437d1, v130
	v_fma_f32 v182, 0x3ee437d1, v29, -v92
	v_fmamk_f32 v213, v27, 0xbf7ba420, v120
	v_fma_f32 v214, 0xbf7ba420, v29, -v75
	v_fma_f32 v222, 0x3ee437d1, v25, -v90
	v_fmamk_f32 v225, v27, 0x3f3d2fb0, v114
	v_fma_f32 v226, 0x3f3d2fb0, v29, -v71
	v_fmamk_f32 v231, v27, 0xbf59a7d5, v101
	v_fmamk_f32 v235, v55, 0x3f6eb680, v68
	v_fma_f32 v236, 0x3f6eb680, v59, -v65
	v_add_f32_e32 v9, v212, v9
	v_add_f32_e32 v0, v179, v0
	;; [unrolled: 1-line block ×10, first 2 shown]
	v_mul_f32_e32 v81, 0x3f7ee86f, v141
	v_mul_f32_e32 v74, 0x3f7ee86f, v140
	v_mul_f32_e32 v77, 0xbf763a35, v141
	v_mul_f32_e32 v70, 0xbf763a35, v140
	v_mul_f32_e32 v73, 0x3f65296c, v141
	v_mul_f32_e32 v63, 0x3f65296c, v140
	v_mul_f32_e32 v80, 0x3f4c4adb, v144
	v_mul_f32_e32 v93, 0x3f2c7751, v141
	v_mul_f32_e32 v103, 0xbf4c4adb, v10
	v_mul_f32_e32 v104, 0xbf4c4adb, v135
	v_fmamk_f32 v183, v55, 0xbe8c1d8e, v122
	v_fma_f32 v184, 0xbe8c1d8e, v59, -v82
	v_fmamk_f32 v215, v55, 0x3f3d2fb0, v108
	v_fma_f32 v216, 0x3f3d2fb0, v59, -v76
	;; [unrolled: 2-line block ×3, first 2 shown]
	v_fma_f32 v232, 0xbf59a7d5, v29, -v91
	v_fmamk_f32 v237, v60, 0xbf1a4643, v64
	v_fma_f32 v238, 0xbf1a4643, v61, -v62
	v_fmamk_f32 v239, v55, 0xbf1a4643, v102
	v_add_f32_e32 v9, v222, v9
	v_add_f32_e32 v0, v181, v0
	;; [unrolled: 1-line block ×10, first 2 shown]
	v_mul_f32_e32 v78, 0x3e3c28d5, v148
	v_fmamk_f32 v193, v60, 0x3dbcf732, v81
	v_fma_f32 v194, 0x3dbcf732, v61, -v74
	v_fmamk_f32 v223, v60, 0xbe8c1d8e, v77
	v_fma_f32 v224, 0xbe8c1d8e, v61, -v70
	;; [unrolled: 2-line block ×3, first 2 shown]
	v_fma_f32 v240, 0xbf1a4643, v59, -v80
	v_fmamk_f32 v241, v60, 0x3f3d2fb0, v93
	v_fmamk_f32 v243, v57, 0xbf1a4643, v103
	v_fma_f32 v244, 0xbf1a4643, v21, -v104
	v_add_f32_e32 v9, v232, v9
	v_add_f32_e32 v0, v183, v0
	;; [unrolled: 1-line block ×10, first 2 shown]
	v_mul_f32_e32 v160, 0x3e3c28d5, v136
	v_add_f32_e32 v167, v240, v9
	v_add_f32_e32 v1, v193, v0
	;; [unrolled: 1-line block ×9, first 2 shown]
	v_fmamk_f32 v11, v58, 0xbf7ba420, v78
	v_mul_f32_e32 v165, 0x3f763a35, v149
	v_add_f32_e32 v156, v244, v171
	v_fma_f32 v157, 0xbf7ba420, v20, -v160
	v_mul_f32_e32 v162, 0x3f763a35, v137
	v_add_f32_e32 v8, v11, v8
	v_fmamk_f32 v11, v56, 0xbe8c1d8e, v165
	v_mul_f32_e32 v166, 0x3f2c7751, v147
	v_add_f32_e32 v156, v157, v156
	v_fma_f32 v157, 0xbe8c1d8e, v19, -v162
	v_mul_f32_e32 v163, 0x3f2c7751, v138
	v_mul_f32_e32 v69, 0x3f2c7751, v140
	v_add_f32_e32 v8, v11, v8
	v_fmamk_f32 v11, v38, 0x3f3d2fb0, v166
	v_mul_f32_e32 v168, 0xbeb8f4ab, v146
	v_add_f32_e32 v156, v157, v156
	v_fma_f32 v157, 0x3f3d2fb0, v25, -v163
	v_mul_f32_e32 v164, 0xbeb8f4ab, v139
	v_fma_f32 v242, 0x3f3d2fb0, v61, -v69
	v_add_f32_e32 v11, v11, v8
	v_fmamk_f32 v169, v27, 0x3f6eb680, v168
	v_mul_f32_e32 v170, 0xbf7ee86f, v143
	v_add_f32_e32 v156, v157, v156
	v_fma_f32 v157, 0x3f6eb680, v29, -v164
	v_mul_f32_e32 v161, 0xbf7ee86f, v144
	v_add_f32_e32 v8, v242, v167
	v_add_f32_e32 v11, v169, v11
	v_fmamk_f32 v167, v55, 0x3dbcf732, v170
	v_add_f32_e32 v169, v157, v156
	v_fma_f32 v171, 0x3dbcf732, v59, -v161
	v_mul_f32_e32 v174, 0xbf7ee86f, v10
	v_mul_f32_e32 v157, 0xbf06c442, v141
	v_add_f32_e32 v11, v167, v11
	v_mul_f32_e32 v177, 0xbf7ee86f, v135
	v_add_f32_e32 v167, v171, v169
	v_fmamk_f32 v169, v57, 0x3dbcf732, v174
	v_mul_f32_e32 v171, 0xbf4c4adb, v148
	v_fmamk_f32 v175, v60, 0xbf59a7d5, v157
	v_mul_f32_e32 v179, 0xbe3c28d5, v149
	v_mul_f32_e32 v180, 0xbf4c4adb, v136
	v_add_f32_e32 v169, v169, v248
	v_fmamk_f32 v178, v58, 0xbf1a4643, v171
	v_add_f32_e32 v11, v175, v11
	v_fma_f32 v175, 0x3dbcf732, v21, -v177
	v_mul_f32_e32 v181, 0x3f06c442, v147
	v_mul_f32_e32 v182, 0xbe3c28d5, v137
	v_add_f32_e32 v169, v178, v169
	v_fmamk_f32 v178, v56, 0xbf7ba420, v179
	v_add_f32_e32 v172, v175, v172
	v_fma_f32 v175, 0xbf1a4643, v20, -v180
	;; [unrolled: 6-line block ×3, first 2 shown]
	v_mul_f32_e32 v184, 0x3f06c442, v138
	v_mul_f32_e32 v185, 0x3f65296c, v143
	v_add_f32_e32 v169, v178, v169
	v_fmamk_f32 v178, v27, 0xbe8c1d8e, v183
	v_fma_f32 v176, 0xbf59a7d5, v61, -v156
	v_add_f32_e32 v172, v175, v172
	v_fma_f32 v175, 0xbf59a7d5, v25, -v184
	v_mul_f32_e32 v186, 0x3f763a35, v139
	v_add_f32_e32 v169, v178, v169
	v_fmamk_f32 v178, v55, 0x3ee437d1, v185
	v_mul_f32_e32 v187, 0xbf2c7751, v10
	v_add_f32_e32 v172, v175, v172
	v_fma_f32 v175, 0xbe8c1d8e, v29, -v186
	v_add_f32_e32 v10, v176, v167
	v_add_f32_e32 v167, v178, v169
	v_fmamk_f32 v169, v57, 0x3f3d2fb0, v187
	v_mul_f32_e32 v176, 0xbf65296c, v148
	v_add_f32_e32 v148, v175, v172
	v_mul_f32_e32 v172, 0x3f65296c, v144
	v_mul_f32_e32 v175, 0x3eb8f4ab, v141
	v_add_f32_e32 v169, v169, v249
	v_fmamk_f32 v178, v58, 0x3ee437d1, v176
	v_mul_f32_e32 v149, 0xbf7ee86f, v149
	v_fma_f32 v188, 0x3ee437d1, v59, -v172
	v_fmamk_f32 v189, v60, 0x3f6eb680, v175
	v_mul_f32_e32 v191, 0xbf763a35, v147
	v_add_f32_e32 v169, v178, v169
	v_fmamk_f32 v178, v56, 0x3dbcf732, v149
	v_add_f32_e32 v51, v121, v51
	v_add_f32_e32 v188, v188, v148
	;; [unrolled: 1-line block ×3, first 2 shown]
	v_fmamk_f32 v121, v38, 0xbe8c1d8e, v191
	v_add_f32_e32 v167, v178, v169
	v_add_f32_e32 v31, v117, v31
	v_mul_f32_e32 v117, 0xbf2c7751, v135
	v_add_f32_e32 v49, v51, v49
	v_fmac_f32_e32 v133, 0x3f6eb680, v21
	v_add_f32_e32 v51, v121, v167
	v_add_f32_e32 v28, v31, v28
	v_fma_f32 v31, 0x3f3d2fb0, v21, -v117
	v_mul_f32_e32 v121, 0xbf65296c, v136
	v_add_f32_e32 v48, v49, v48
	v_mul_f32_e32 v49, 0xbf4c4adb, v146
	v_add_f32_e32 v26, v28, v26
	v_add_f32_e32 v28, v31, v173
	v_fma_f32 v31, 0x3ee437d1, v20, -v121
	v_add_f32_e32 v46, v48, v46
	v_mul_f32_e32 v48, 0xbf7ee86f, v137
	v_add_f32_e32 v24, v26, v24
	v_fmamk_f32 v135, v27, 0xbf1a4643, v49
	v_add_f32_e32 v26, v31, v28
	v_add_f32_e32 v28, v46, v50
	v_fma_f32 v31, 0x3dbcf732, v19, -v48
	v_add_f32_e32 v23, v24, v23
	v_mul_f32_e32 v46, 0xbf763a35, v138
	v_add_f32_e32 v50, v135, v51
	v_add_f32_e32 v24, v28, v52
	;; [unrolled: 1-line block ×4, first 2 shown]
	v_fma_f32 v28, 0xbe8c1d8e, v25, -v46
	v_mul_f32_e32 v51, 0xbf4c4adb, v139
	v_add_f32_e32 v23, v24, v54
	v_mul_f32_e32 v24, 0xbf06c442, v143
	v_add_f32_e32 v18, v22, v18
	v_add_f32_e32 v26, v28, v26
	v_fma_f32 v28, 0xbf1a4643, v29, -v51
	v_add_f32_e32 v22, v23, v53
	v_mul_f32_e32 v52, 0xbf06c442, v144
	v_add_f32_e32 v17, v18, v17
	v_fmamk_f32 v23, v55, 0xbf59a7d5, v24
	v_add_f32_e32 v26, v28, v26
	v_add_f32_e32 v18, v22, v47
	v_fma_f32 v22, 0xbf59a7d5, v59, -v52
	v_mul_f32_e32 v28, 0xbe3c28d5, v141
	v_add_f32_e32 v16, v17, v16
	v_add_f32_e32 v23, v23, v50
	;; [unrolled: 1-line block ×4, first 2 shown]
	v_fmamk_f32 v22, v60, 0xbf7ba420, v28
	v_mul_f32_e32 v26, 0xbe3c28d5, v140
	v_add_f32_e32 v16, v16, v15
	v_add_f32_e32 v17, v17, v44
	v_fma_f32 v31, 0x3f6eb680, v57, -v145
	v_add_f32_e32 v15, v22, v23
	v_fma_f32 v22, 0xbf7ba420, v61, -v26
	v_add_f32_e32 v16, v16, v14
	v_add_f32_e32 v17, v17, v43
	v_add_f32_e32 v23, v31, v250
	v_fma_f32 v31, 0xbf59a7d5, v58, -v142
	v_add_f32_e32 v14, v22, v18
	v_add_f32_e32 v13, v16, v13
	v_add_f32_e32 v16, v17, v42
	v_fma_f32 v18, 0x3f3d2fb0, v56, -v134
	v_add_f32_e32 v17, v31, v23
	v_add_f32_e32 v22, v133, v251
	v_fmac_f32_e32 v131, 0xbf59a7d5, v20
	v_add_f32_e32 v12, v13, v12
	v_add_f32_e32 v13, v16, v41
	v_add_f32_e32 v16, v18, v17
	v_fma_f32 v17, 0xbf1a4643, v38, -v132
	v_add_f32_e32 v18, v131, v22
	v_fmac_f32_e32 v129, 0x3f3d2fb0, v19
	v_fmac_f32_e32 v115, 0xbf1a4643, v25
	v_fma_f32 v22, 0x3ee437d1, v57, -v127
	v_add_f32_e32 v16, v17, v16
	v_fma_f32 v17, 0x3ee437d1, v27, -v130
	v_add_f32_e32 v18, v129, v18
	v_fmac_f32_e32 v92, 0x3ee437d1, v29
	v_add_f32_e32 v22, v22, v252
	v_fma_f32 v23, 0x3dbcf732, v58, -v128
	v_add_f32_e32 v16, v17, v16
	v_fma_f32 v17, 0xbe8c1d8e, v55, -v122
	v_add_f32_e32 v18, v115, v18
	v_fmac_f32_e32 v105, 0x3ee437d1, v21
	v_fmac_f32_e32 v82, 0xbe8c1d8e, v59
	;; [unrolled: 1-line block ×3, first 2 shown]
	v_add_f32_e32 v16, v17, v16
	v_add_f32_e32 v17, v92, v18
	;; [unrolled: 1-line block ×3, first 2 shown]
	v_fma_f32 v22, 0xbf1a4643, v56, -v118
	v_add_f32_e32 v23, v105, v253
	v_add_f32_e32 v12, v12, v30
	;; [unrolled: 1-line block ×3, first 2 shown]
	v_fma_f32 v17, 0x3dbcf732, v60, -v81
	v_add_f32_e32 v18, v22, v18
	v_fma_f32 v22, 0x3f6eb680, v38, -v119
	v_add_f32_e32 v23, v106, v23
	v_fmac_f32_e32 v107, 0xbf1a4643, v19
	v_fmac_f32_e32 v74, 0x3dbcf732, v61
	v_add_f32_e32 v17, v17, v16
	v_add_f32_e32 v18, v22, v18
	v_fma_f32 v22, 0xbf7ba420, v27, -v120
	v_add_f32_e32 v23, v107, v23
	v_fmac_f32_e32 v83, 0x3f6eb680, v25
	v_add_f32_e32 v16, v74, v30
	v_fma_f32 v30, 0xbe8c1d8e, v57, -v125
	v_add_f32_e32 v18, v22, v18
	v_fma_f32 v22, 0x3f3d2fb0, v55, -v108
	v_add_f32_e32 v23, v83, v23
	v_fmac_f32_e32 v75, 0xbf7ba420, v29
	v_add_f32_e32 v30, v30, v254
	v_fma_f32 v31, 0x3f6eb680, v58, -v126
	v_fmac_f32_e32 v94, 0xbe8c1d8e, v21
	v_add_f32_e32 v18, v22, v18
	v_add_f32_e32 v22, v75, v23
	v_fmac_f32_e32 v95, 0x3f6eb680, v20
	v_add_f32_e32 v23, v31, v30
	v_fma_f32 v30, 0xbf59a7d5, v56, -v112
	v_add_f32_e32 v31, v94, v255
	v_add_f32_e32 v13, v13, v33
	;; [unrolled: 1-line block ×3, first 2 shown]
	v_fma_f32 v33, 0xbe8c1d8e, v60, -v77
	v_add_f32_e32 v30, v30, v23
	v_fma_f32 v37, 0x3dbcf732, v38, -v113
	v_add_f32_e32 v31, v95, v31
	v_fmac_f32_e32 v96, 0xbf59a7d5, v19
	v_add_f32_e32 v23, v33, v18
	v_fmac_f32_e32 v79, 0x3dbcf732, v25
	v_add_f32_e32 v18, v37, v30
	v_fma_f32 v30, 0x3f3d2fb0, v27, -v114
	v_add_f32_e32 v31, v96, v31
	v_fma_f32 v33, 0xbf59a7d5, v57, -v123
	v_fmac_f32_e32 v71, 0x3f3d2fb0, v29
	v_fmac_f32_e32 v84, 0xbf59a7d5, v21
	v_add_f32_e32 v18, v30, v18
	v_fma_f32 v30, 0xbf7ba420, v55, -v97
	v_add_f32_e32 v31, v79, v31
	v_add_f32_e32 v33, v33, v34
	v_fma_f32 v34, 0x3f3d2fb0, v58, -v124
	v_fmac_f32_e32 v85, 0x3f3d2fb0, v20
	v_add_f32_e32 v18, v30, v18
	v_add_f32_e32 v30, v71, v31
	v_fma_f32 v37, 0xbf7ba420, v38, -v110
	v_add_f32_e32 v31, v34, v33
	v_fma_f32 v33, 0x3ee437d1, v56, -v109
	;; [unrolled: 2-line block ×3, first 2 shown]
	v_fmac_f32_e32 v86, 0x3ee437d1, v19
	v_fmac_f32_e32 v67, 0xbf7ba420, v25
	v_add_f32_e32 v33, v33, v31
	v_add_f32_e32 v34, v85, v34
	;; [unrolled: 1-line block ×3, first 2 shown]
	v_fma_f32 v35, 0xbf7ba420, v57, -v116
	v_fmac_f32_e32 v87, 0xbf7ba420, v21
	v_add_f32_e32 v18, v37, v33
	v_fma_f32 v33, 0x3dbcf732, v27, -v111
	v_add_f32_e32 v34, v86, v34
	v_fmac_f32_e32 v88, 0xbe8c1d8e, v20
	v_add_f32_e32 v37, v87, v158
	v_fmac_f32_e32 v66, 0x3dbcf732, v29
	v_add_f32_e32 v18, v33, v18
	v_add_f32_e32 v33, v67, v34
	;; [unrolled: 1-line block ×3, first 2 shown]
	v_fma_f32 v35, 0xbe8c1d8e, v58, -v98
	v_add_f32_e32 v37, v88, v37
	v_fmac_f32_e32 v89, 0x3f6eb680, v19
	v_fma_f32 v41, 0x3f6eb680, v55, -v68
	v_add_f32_e32 v33, v66, v33
	v_add_f32_e32 v34, v35, v34
	v_fma_f32 v35, 0x3f6eb680, v56, -v99
	v_fmac_f32_e32 v65, 0x3f6eb680, v59
	v_add_f32_e32 v37, v89, v37
	v_fmac_f32_e32 v90, 0x3ee437d1, v25
	v_add_f32_e32 v18, v41, v18
	v_add_f32_e32 v34, v35, v34
	v_fma_f32 v35, 0x3ee437d1, v38, -v100
	v_add_f32_e32 v33, v65, v33
	v_fma_f32 v41, 0xbf1a4643, v60, -v64
	v_add_f32_e32 v37, v90, v37
	v_fmac_f32_e32 v91, 0xbf59a7d5, v29
	v_add_f32_e32 v34, v35, v34
	v_fma_f32 v35, 0xbf59a7d5, v27, -v101
	v_fmac_f32_e32 v62, 0xbf1a4643, v61
	v_add_f32_e32 v42, v41, v18
	v_add_f32_e32 v18, v91, v37
	v_fmac_f32_e32 v80, 0xbf1a4643, v59
	v_add_f32_e32 v34, v35, v34
	v_fma_f32 v35, 0xbf1a4643, v55, -v102
	v_add_f32_e32 v41, v62, v33
	v_fmac_f32_e32 v104, 0xbf1a4643, v21
	v_add_f32_e32 v18, v80, v18
	v_fmac_f32_e32 v69, 0x3f3d2fb0, v61
	v_add_f32_e32 v33, v35, v34
	v_fma_f32 v34, 0x3f3d2fb0, v60, -v93
	v_fma_f32 v35, 0xbf1a4643, v57, -v103
	v_fmac_f32_e32 v160, 0xbf7ba420, v20
	v_add_f32_e32 v43, v69, v18
	v_fma_f32 v18, 0x3dbcf732, v57, -v174
	v_add_f32_e32 v44, v34, v33
	v_add_f32_e32 v33, v35, v155
	v_fma_f32 v34, 0xbf7ba420, v58, -v78
	v_add_f32_e32 v35, v104, v154
	v_fmac_f32_e32 v162, 0xbe8c1d8e, v19
	v_add_f32_e32 v18, v18, v153
	v_fma_f32 v37, 0xbf1a4643, v58, -v171
	v_add_f32_e32 v33, v34, v33
	v_fma_f32 v34, 0xbe8c1d8e, v56, -v165
	v_add_f32_e32 v35, v160, v35
	v_fmac_f32_e32 v163, 0x3f3d2fb0, v25
	v_add_f32_e32 v18, v37, v18
	v_fma_f32 v37, 0xbf7ba420, v56, -v179
	;; [unrolled: 6-line block ×5, first 2 shown]
	v_add_f32_e32 v33, v34, v33
	v_add_f32_e32 v34, v161, v35
	v_fma_f32 v35, 0x3f3d2fb0, v57, -v187
	v_add_f32_e32 v45, v177, v152
	v_fmac_f32_e32 v180, 0xbf1a4643, v20
	v_fma_f32 v47, 0x3ee437d1, v58, -v176
	v_fmac_f32_e32 v117, 0x3f3d2fb0, v21
	v_add_f32_e32 v35, v35, v151
	v_add_f32_e32 v37, v37, v18
	v_add_f32_e32 v18, v180, v45
	v_fmac_f32_e32 v182, 0xbf7ba420, v19
	v_add_f32_e32 v45, v117, v150
	v_add_f32_e32 v21, v47, v35
	v_fma_f32 v35, 0x3dbcf732, v56, -v149
	v_fmac_f32_e32 v121, 0x3ee437d1, v20
	v_add_f32_e32 v18, v182, v18
	v_fma_f32 v20, 0xbf59a7d5, v60, -v157
	v_fmac_f32_e32 v48, 0x3dbcf732, v19
	v_add_f32_e32 v21, v35, v21
	v_fma_f32 v35, 0xbe8c1d8e, v38, -v191
	v_add_f32_e32 v38, v121, v45
	v_fmac_f32_e32 v184, 0xbf59a7d5, v25
	v_add_f32_e32 v19, v20, v33
	v_fmac_f32_e32 v46, 0xbe8c1d8e, v25
	v_fmac_f32_e32 v186, 0xbe8c1d8e, v29
	v_add_f32_e32 v33, v48, v38
	v_add_f32_e32 v18, v184, v18
	v_fmac_f32_e32 v156, 0xbf59a7d5, v61
	v_add_f32_e32 v21, v35, v21
	v_fma_f32 v25, 0xbf1a4643, v27, -v49
	v_add_f32_e32 v27, v46, v33
	v_fmac_f32_e32 v51, 0xbf1a4643, v29
	v_add_f32_e32 v18, v186, v18
	v_fmac_f32_e32 v172, 0x3ee437d1, v59
	v_add_f32_e32 v21, v25, v21
	v_mul_f32_e32 v190, 0x3eb8f4ab, v140
	v_add_f32_e32 v25, v51, v27
	v_fmac_f32_e32 v76, 0x3f3d2fb0, v59
	v_add_f32_e32 v27, v172, v18
	v_add_f32_e32 v18, v156, v34
	s_clause 0x1
	buffer_load_dword v34, off, s[24:27], 0
	buffer_load_dword v35, off, s[24:27], 0 offset:4
	v_fma_f32 v147, 0x3f6eb680, v61, -v190
	v_fmac_f32_e32 v72, 0xbf7ba420, v59
	v_fma_f32 v24, 0xbf59a7d5, v55, -v24
	v_fmac_f32_e32 v52, 0xbf59a7d5, v59
	v_add_f32_e32 v22, v76, v22
	v_add_f32_e32 v147, v147, v188
	v_fmac_f32_e32 v70, 0xbe8c1d8e, v61
	v_add_f32_e32 v30, v72, v30
	v_fmac_f32_e32 v63, 0x3ee437d1, v61
	v_fma_f32 v20, 0x3f6eb680, v60, -v175
	v_fmac_f32_e32 v190, 0x3f6eb680, v61
	v_add_f32_e32 v24, v24, v21
	v_fma_f32 v28, 0xbf7ba420, v60, -v28
	v_add_f32_e32 v29, v52, v25
	v_fmac_f32_e32 v26, 0xbf7ba420, v61
	ds_write2_b64 v39, v[12:13], v[14:15] offset1:50
	v_add_nc_u32_e32 v12, 0x800, v39
	v_add_f32_e32 v22, v70, v22
	v_add_f32_e32 v30, v63, v30
	ds_write2_b64 v39, v[147:148], v[10:11] offset0:100 offset1:150
	v_add_nc_u32_e32 v10, 0xc00, v39
	v_add_nc_u32_e32 v11, 0x1000, v39
	v_add_f32_e32 v21, v20, v37
	v_add_f32_e32 v20, v190, v27
	;; [unrolled: 1-line block ×4, first 2 shown]
	ds_write2_b64 v39, v[8:9], v[6:7] offset0:200 offset1:250
	ds_write2_b64 v12, v[4:5], v[2:3] offset0:44 offset1:94
	;; [unrolled: 1-line block ×6, first 2 shown]
	ds_write_b64 v39, v[24:25] offset:6400
.LBB0_17:
	s_or_b32 exec_lo, exec_lo, s1
	s_waitcnt vmcnt(0) lgkmcnt(0)
	s_waitcnt_vscnt null, 0x0
	s_barrier
	buffer_gl0_inv
	ds_read_b64 v[4:5], v39
	v_lshlrev_b32_e32 v0, 3, v32
	s_add_u32 s1, s8, 0x1a40
	s_addc_u32 s4, s9, 0
	s_mov_b32 s5, exec_lo
                                        ; implicit-def: $vgpr2
                                        ; implicit-def: $vgpr7
                                        ; implicit-def: $vgpr8
	v_sub_nc_u32_e32 v6, 0, v0
                                        ; implicit-def: $vgpr0_vgpr1
	v_cmpx_ne_u32_e32 0, v32
	s_xor_b32 s5, exec_lo, s5
	s_cbranch_execz .LBB0_19
; %bb.18:
	v_mov_b32_e32 v33, 0
	ds_read_b64 v[2:3], v6 offset:6800
	v_lshlrev_b64 v[0:1], 3, v[32:33]
	v_add_co_u32 v0, s0, s1, v0
	v_add_co_ci_u32_e64 v1, s0, s4, v1, s0
	global_load_dwordx2 v[0:1], v[0:1], off
	s_waitcnt lgkmcnt(0)
	v_sub_f32_e32 v7, v4, v2
	v_add_f32_e32 v8, v3, v5
	v_sub_f32_e32 v3, v5, v3
	v_add_f32_e32 v2, v2, v4
	v_mul_f32_e32 v5, 0.5, v7
	v_mul_f32_e32 v9, 0.5, v8
	v_mul_f32_e32 v3, 0.5, v3
	s_waitcnt vmcnt(0)
	v_mul_f32_e32 v4, v1, v5
	v_fma_f32 v8, v9, v1, v3
	v_fma_f32 v1, v9, v1, -v3
	v_fma_f32 v7, 0.5, v2, v4
	v_fma_f32 v2, v2, 0.5, -v4
	v_fma_f32 v8, -v0, v5, v8
	v_fma_f32 v3, -v0, v5, v1
                                        ; implicit-def: $vgpr4_vgpr5
	v_fmac_f32_e32 v7, v0, v9
	v_fma_f32 v2, -v0, v9, v2
	v_mov_b32_e32 v0, v32
	v_mov_b32_e32 v1, v33
.LBB0_19:
	s_andn2_saveexec_b32 s0, s5
	s_cbranch_execz .LBB0_21
; %bb.20:
	v_mov_b32_e32 v8, 0
	s_waitcnt lgkmcnt(0)
	v_add_f32_e32 v7, v4, v5
	v_sub_f32_e32 v2, v4, v5
	v_mov_b32_e32 v3, 0
	ds_read_b32 v0, v8 offset:3404
	s_waitcnt lgkmcnt(0)
	v_xor_b32_e32 v4, 0x80000000, v0
	v_mov_b32_e32 v0, 0
	v_mov_b32_e32 v1, 0
	ds_write_b32 v8, v4 offset:3404
.LBB0_21:
	s_or_b32 exec_lo, exec_lo, s0
	v_mov_b32_e32 v37, 0
	v_lshlrev_b64 v[0:1], 3, v[0:1]
	s_waitcnt lgkmcnt(0)
	v_lshlrev_b64 v[4:5], 3, v[36:37]
	v_add_co_u32 v4, s0, s1, v4
	v_add_co_ci_u32_e64 v5, s0, s4, v5, s0
	v_add_co_u32 v9, s0, s1, v0
	v_add_co_ci_u32_e64 v10, s0, s4, v1, s0
	s_clause 0x2
	global_load_dwordx2 v[4:5], v[4:5], off
	global_load_dwordx2 v[11:12], v[9:10], off offset:1360
	global_load_dwordx2 v[13:14], v[9:10], off offset:2040
	v_add_co_u32 v9, s0, 0x800, v9
	v_add_co_ci_u32_e64 v10, s0, 0, v10, s0
	global_load_dwordx2 v[9:10], v[9:10], off offset:672
	ds_write2_b32 v39, v7, v8 offset1:1
	ds_write_b64 v6, v[2:3] offset:6800
	ds_read_b64 v[2:3], v40
	ds_read_b64 v[7:8], v6 offset:6120
	s_waitcnt lgkmcnt(0)
	v_sub_f32_e32 v15, v2, v7
	v_add_f32_e32 v16, v3, v8
	v_sub_f32_e32 v3, v3, v8
	v_add_f32_e32 v2, v2, v7
	v_mul_f32_e32 v8, 0.5, v15
	v_mul_f32_e32 v15, 0.5, v16
	;; [unrolled: 1-line block ×3, first 2 shown]
	s_waitcnt vmcnt(3)
	v_mul_f32_e32 v7, v5, v8
	v_fma_f32 v16, v15, v5, v3
	v_fma_f32 v3, v15, v5, -v3
	v_fma_f32 v5, 0.5, v2, v7
	v_fma_f32 v2, v2, 0.5, -v7
	v_fma_f32 v7, -v4, v8, v16
	v_fma_f32 v3, -v4, v8, v3
	v_fmac_f32_e32 v5, v4, v15
	v_fma_f32 v2, -v4, v15, v2
	v_add_nc_u32_e32 v15, 0x400, v39
	ds_write2_b32 v40, v5, v7 offset1:1
	ds_write_b64 v6, v[2:3] offset:6120
	ds_read_b64 v[2:3], v39 offset:1360
	ds_read_b64 v[4:5], v6 offset:5440
	s_waitcnt lgkmcnt(0)
	v_sub_f32_e32 v7, v2, v4
	v_add_f32_e32 v8, v3, v5
	v_sub_f32_e32 v3, v3, v5
	v_add_f32_e32 v2, v2, v4
	v_mul_f32_e32 v5, 0.5, v7
	v_mul_f32_e32 v7, 0.5, v8
	;; [unrolled: 1-line block ×3, first 2 shown]
	s_waitcnt vmcnt(2)
	v_mul_f32_e32 v4, v12, v5
	v_fma_f32 v8, v7, v12, v3
	v_fma_f32 v3, v7, v12, -v3
	v_fma_f32 v12, 0.5, v2, v4
	v_fma_f32 v2, v2, 0.5, -v4
	v_fma_f32 v4, -v11, v5, v8
	v_fma_f32 v3, -v11, v5, v3
	v_fmac_f32_e32 v12, v11, v7
	v_fma_f32 v2, -v11, v7, v2
	ds_write2_b32 v15, v12, v4 offset0:84 offset1:85
	ds_write_b64 v6, v[2:3] offset:5440
	ds_read_b64 v[2:3], v39 offset:2040
	ds_read_b64 v[4:5], v6 offset:4760
	s_waitcnt lgkmcnt(0)
	v_sub_f32_e32 v7, v2, v4
	v_add_f32_e32 v8, v3, v5
	v_sub_f32_e32 v3, v3, v5
	v_add_f32_e32 v2, v2, v4
	v_mul_f32_e32 v5, 0.5, v7
	v_mul_f32_e32 v7, 0.5, v8
	;; [unrolled: 1-line block ×3, first 2 shown]
	s_waitcnt vmcnt(1)
	v_mul_f32_e32 v4, v14, v5
	v_fma_f32 v8, v7, v14, v3
	v_fma_f32 v3, v7, v14, -v3
	v_fma_f32 v11, 0.5, v2, v4
	v_fma_f32 v2, v2, 0.5, -v4
	v_fma_f32 v4, -v13, v5, v8
	v_fma_f32 v3, -v13, v5, v3
	v_fmac_f32_e32 v11, v13, v7
	v_fma_f32 v2, -v13, v7, v2
	ds_write2_b32 v15, v11, v4 offset0:254 offset1:255
	ds_write_b64 v6, v[2:3] offset:4760
	ds_read_b64 v[2:3], v39 offset:2720
	ds_read_b64 v[4:5], v6 offset:4080
	s_waitcnt lgkmcnt(0)
	v_sub_f32_e32 v7, v2, v4
	v_add_f32_e32 v8, v3, v5
	v_sub_f32_e32 v3, v3, v5
	v_add_f32_e32 v2, v2, v4
	v_mul_f32_e32 v5, 0.5, v7
	v_mul_f32_e32 v7, 0.5, v8
	;; [unrolled: 1-line block ×3, first 2 shown]
	s_waitcnt vmcnt(0)
	v_mul_f32_e32 v4, v10, v5
	v_fma_f32 v8, v7, v10, v3
	v_fma_f32 v3, v7, v10, -v3
	v_fma_f32 v10, 0.5, v2, v4
	v_fma_f32 v2, v2, 0.5, -v4
	v_add_nc_u32_e32 v4, 0x800, v39
	v_fma_f32 v8, -v9, v5, v8
	v_fma_f32 v3, -v9, v5, v3
	v_fmac_f32_e32 v10, v9, v7
	v_fma_f32 v2, -v9, v7, v2
	ds_write2_b32 v4, v10, v8 offset0:168 offset1:169
	ds_write_b64 v6, v[2:3] offset:4080
	s_waitcnt lgkmcnt(0)
	s_barrier
	buffer_gl0_inv
	s_and_saveexec_b32 s0, vcc_lo
	s_cbranch_execz .LBB0_24
; %bb.22:
	ds_read2_b64 v[5:8], v39 offset1:85
	ds_read2_b64 v[9:12], v39 offset0:170 offset1:255
	ds_read2_b64 v[13:16], v4 offset0:84 offset1:169
	v_add_nc_u32_e32 v4, 0xc00, v39
	v_add_nc_u32_e32 v21, 0x1000, v39
	v_add_co_u32 v2, vcc_lo, s2, v34
	ds_read2_b64 v[17:20], v4 offset0:126 offset1:211
	ds_read2_b64 v[21:24], v21 offset0:168 offset1:253
	v_add_co_ci_u32_e32 v3, vcc_lo, s3, v35, vcc_lo
	v_add_co_u32 v0, vcc_lo, v2, v0
	v_add_co_ci_u32_e32 v1, vcc_lo, v3, v1, vcc_lo
	v_add_co_u32 v4, vcc_lo, 0x800, v0
	s_waitcnt lgkmcnt(4)
	global_store_dwordx2 v[0:1], v[5:6], off
	global_store_dwordx2 v[0:1], v[7:8], off offset:680
	s_waitcnt lgkmcnt(3)
	global_store_dwordx2 v[0:1], v[9:10], off offset:1360
	global_store_dwordx2 v[0:1], v[11:12], off offset:2040
	v_add_co_ci_u32_e32 v5, vcc_lo, 0, v1, vcc_lo
	v_add_co_u32 v0, vcc_lo, 0x1000, v0
	v_add_co_ci_u32_e32 v1, vcc_lo, 0, v1, vcc_lo
	v_cmp_eq_u32_e32 vcc_lo, 0x54, v32
	s_waitcnt lgkmcnt(2)
	global_store_dwordx2 v[4:5], v[13:14], off offset:672
	global_store_dwordx2 v[4:5], v[15:16], off offset:1352
	s_waitcnt lgkmcnt(1)
	global_store_dwordx2 v[4:5], v[17:18], off offset:2032
	global_store_dwordx2 v[0:1], v[19:20], off offset:664
	;; [unrolled: 3-line block ×3, first 2 shown]
	s_and_b32 exec_lo, exec_lo, vcc_lo
	s_cbranch_execz .LBB0_24
; %bb.23:
	v_mov_b32_e32 v0, 0
	v_add_co_u32 v2, vcc_lo, 0x1800, v2
	v_add_co_ci_u32_e32 v3, vcc_lo, 0, v3, vcc_lo
	ds_read_b64 v[0:1], v0 offset:6800
	s_waitcnt lgkmcnt(0)
	global_store_dwordx2 v[2:3], v[0:1], off offset:656
.LBB0_24:
	s_endpgm
	.section	.rodata,"a",@progbits
	.p2align	6, 0x0
	.amdhsa_kernel fft_rtc_fwd_len850_factors_10_5_17_wgs_85_tpt_85_sp_ip_CI_unitstride_sbrr_R2C_dirReg
		.amdhsa_group_segment_fixed_size 0
		.amdhsa_private_segment_fixed_size 12
		.amdhsa_kernarg_size 88
		.amdhsa_user_sgpr_count 6
		.amdhsa_user_sgpr_private_segment_buffer 1
		.amdhsa_user_sgpr_dispatch_ptr 0
		.amdhsa_user_sgpr_queue_ptr 0
		.amdhsa_user_sgpr_kernarg_segment_ptr 1
		.amdhsa_user_sgpr_dispatch_id 0
		.amdhsa_user_sgpr_flat_scratch_init 0
		.amdhsa_user_sgpr_private_segment_size 0
		.amdhsa_wavefront_size32 1
		.amdhsa_uses_dynamic_stack 0
		.amdhsa_system_sgpr_private_segment_wavefront_offset 1
		.amdhsa_system_sgpr_workgroup_id_x 1
		.amdhsa_system_sgpr_workgroup_id_y 0
		.amdhsa_system_sgpr_workgroup_id_z 0
		.amdhsa_system_sgpr_workgroup_info 0
		.amdhsa_system_vgpr_workitem_id 0
		.amdhsa_next_free_vgpr 256
		.amdhsa_next_free_sgpr 28
		.amdhsa_reserve_vcc 1
		.amdhsa_reserve_flat_scratch 0
		.amdhsa_float_round_mode_32 0
		.amdhsa_float_round_mode_16_64 0
		.amdhsa_float_denorm_mode_32 3
		.amdhsa_float_denorm_mode_16_64 3
		.amdhsa_dx10_clamp 1
		.amdhsa_ieee_mode 1
		.amdhsa_fp16_overflow 0
		.amdhsa_workgroup_processor_mode 1
		.amdhsa_memory_ordered 1
		.amdhsa_forward_progress 0
		.amdhsa_shared_vgpr_count 0
		.amdhsa_exception_fp_ieee_invalid_op 0
		.amdhsa_exception_fp_denorm_src 0
		.amdhsa_exception_fp_ieee_div_zero 0
		.amdhsa_exception_fp_ieee_overflow 0
		.amdhsa_exception_fp_ieee_underflow 0
		.amdhsa_exception_fp_ieee_inexact 0
		.amdhsa_exception_int_div_zero 0
	.end_amdhsa_kernel
	.text
.Lfunc_end0:
	.size	fft_rtc_fwd_len850_factors_10_5_17_wgs_85_tpt_85_sp_ip_CI_unitstride_sbrr_R2C_dirReg, .Lfunc_end0-fft_rtc_fwd_len850_factors_10_5_17_wgs_85_tpt_85_sp_ip_CI_unitstride_sbrr_R2C_dirReg
                                        ; -- End function
	.section	.AMDGPU.csdata,"",@progbits
; Kernel info:
; codeLenInByte = 10532
; NumSgprs: 30
; NumVgprs: 256
; ScratchSize: 12
; MemoryBound: 0
; FloatMode: 240
; IeeeMode: 1
; LDSByteSize: 0 bytes/workgroup (compile time only)
; SGPRBlocks: 3
; VGPRBlocks: 31
; NumSGPRsForWavesPerEU: 30
; NumVGPRsForWavesPerEU: 256
; Occupancy: 4
; WaveLimiterHint : 1
; COMPUTE_PGM_RSRC2:SCRATCH_EN: 1
; COMPUTE_PGM_RSRC2:USER_SGPR: 6
; COMPUTE_PGM_RSRC2:TRAP_HANDLER: 0
; COMPUTE_PGM_RSRC2:TGID_X_EN: 1
; COMPUTE_PGM_RSRC2:TGID_Y_EN: 0
; COMPUTE_PGM_RSRC2:TGID_Z_EN: 0
; COMPUTE_PGM_RSRC2:TIDIG_COMP_CNT: 0
	.text
	.p2alignl 6, 3214868480
	.fill 48, 4, 3214868480
	.type	__hip_cuid_9ab9325bcc410b19,@object ; @__hip_cuid_9ab9325bcc410b19
	.section	.bss,"aw",@nobits
	.globl	__hip_cuid_9ab9325bcc410b19
__hip_cuid_9ab9325bcc410b19:
	.byte	0                               ; 0x0
	.size	__hip_cuid_9ab9325bcc410b19, 1

	.ident	"AMD clang version 19.0.0git (https://github.com/RadeonOpenCompute/llvm-project roc-6.4.0 25133 c7fe45cf4b819c5991fe208aaa96edf142730f1d)"
	.section	".note.GNU-stack","",@progbits
	.addrsig
	.addrsig_sym __hip_cuid_9ab9325bcc410b19
	.amdgpu_metadata
---
amdhsa.kernels:
  - .args:
      - .actual_access:  read_only
        .address_space:  global
        .offset:         0
        .size:           8
        .value_kind:     global_buffer
      - .offset:         8
        .size:           8
        .value_kind:     by_value
      - .actual_access:  read_only
        .address_space:  global
        .offset:         16
        .size:           8
        .value_kind:     global_buffer
      - .actual_access:  read_only
        .address_space:  global
        .offset:         24
        .size:           8
        .value_kind:     global_buffer
      - .offset:         32
        .size:           8
        .value_kind:     by_value
      - .actual_access:  read_only
        .address_space:  global
        .offset:         40
        .size:           8
        .value_kind:     global_buffer
      - .actual_access:  read_only
        .address_space:  global
        .offset:         48
        .size:           8
        .value_kind:     global_buffer
      - .offset:         56
        .size:           4
        .value_kind:     by_value
      - .actual_access:  read_only
        .address_space:  global
        .offset:         64
        .size:           8
        .value_kind:     global_buffer
      - .actual_access:  read_only
        .address_space:  global
        .offset:         72
        .size:           8
        .value_kind:     global_buffer
      - .address_space:  global
        .offset:         80
        .size:           8
        .value_kind:     global_buffer
    .group_segment_fixed_size: 0
    .kernarg_segment_align: 8
    .kernarg_segment_size: 88
    .language:       OpenCL C
    .language_version:
      - 2
      - 0
    .max_flat_workgroup_size: 85
    .name:           fft_rtc_fwd_len850_factors_10_5_17_wgs_85_tpt_85_sp_ip_CI_unitstride_sbrr_R2C_dirReg
    .private_segment_fixed_size: 12
    .sgpr_count:     30
    .sgpr_spill_count: 0
    .symbol:         fft_rtc_fwd_len850_factors_10_5_17_wgs_85_tpt_85_sp_ip_CI_unitstride_sbrr_R2C_dirReg.kd
    .uniform_work_group_size: 1
    .uses_dynamic_stack: false
    .vgpr_count:     256
    .vgpr_spill_count: 2
    .wavefront_size: 32
    .workgroup_processor_mode: 1
amdhsa.target:   amdgcn-amd-amdhsa--gfx1030
amdhsa.version:
  - 1
  - 2
...

	.end_amdgpu_metadata
